;; amdgpu-corpus repo=ROCm/rocFFT kind=compiled arch=gfx950 opt=O3
	.text
	.amdgcn_target "amdgcn-amd-amdhsa--gfx950"
	.amdhsa_code_object_version 6
	.protected	fft_rtc_back_len96_factors_4_2_3_4_wgs_128_tpt_8_halfLds_dim3_dp_op_CI_CI_sbcc_twdbase8_3step_dirReg_intrinsicReadWrite ; -- Begin function fft_rtc_back_len96_factors_4_2_3_4_wgs_128_tpt_8_halfLds_dim3_dp_op_CI_CI_sbcc_twdbase8_3step_dirReg_intrinsicReadWrite
	.globl	fft_rtc_back_len96_factors_4_2_3_4_wgs_128_tpt_8_halfLds_dim3_dp_op_CI_CI_sbcc_twdbase8_3step_dirReg_intrinsicReadWrite
	.p2align	8
	.type	fft_rtc_back_len96_factors_4_2_3_4_wgs_128_tpt_8_halfLds_dim3_dp_op_CI_CI_sbcc_twdbase8_3step_dirReg_intrinsicReadWrite,@function
fft_rtc_back_len96_factors_4_2_3_4_wgs_128_tpt_8_halfLds_dim3_dp_op_CI_CI_sbcc_twdbase8_3step_dirReg_intrinsicReadWrite: ; @fft_rtc_back_len96_factors_4_2_3_4_wgs_128_tpt_8_halfLds_dim3_dp_op_CI_CI_sbcc_twdbase8_3step_dirReg_intrinsicReadWrite
; %bb.0:
	s_load_dwordx4 s[4:7], s[0:1], 0x10
	s_mov_b32 s3, 0
	s_mov_b64 s[20:21], 0
	s_waitcnt lgkmcnt(0)
	s_load_dwordx2 s[10:11], s[4:5], 0x8
	s_waitcnt lgkmcnt(0)
	s_add_u32 s8, s10, -1
	s_addc_u32 s9, s11, -1
	s_lshr_b64 s[8:9], s[8:9], 4
	s_add_u32 s16, s8, 1
	s_addc_u32 s17, s9, 0
	v_mov_b64_e32 v[2:3], s[16:17]
	v_cmp_lt_u64_e32 vcc, s[2:3], v[2:3]
	s_cbranch_vccnz .LBB0_2
; %bb.1:
	v_cvt_f32_u32_e32 v1, s16
	s_sub_i32 s8, 0, s16
	s_mov_b32 s21, s3
	v_rcp_iflag_f32_e32 v1, v1
	s_nop 0
	v_mul_f32_e32 v1, 0x4f7ffffe, v1
	v_cvt_u32_f32_e32 v1, v1
	s_nop 0
	v_readfirstlane_b32 s9, v1
	s_mul_i32 s8, s8, s9
	s_mul_hi_u32 s8, s9, s8
	s_add_i32 s9, s9, s8
	s_mul_hi_u32 s8, s2, s9
	s_mul_i32 s12, s8, s16
	s_sub_i32 s12, s2, s12
	s_add_i32 s9, s8, 1
	s_sub_i32 s13, s12, s16
	s_cmp_ge_u32 s12, s16
	s_cselect_b32 s8, s9, s8
	s_cselect_b32 s12, s13, s12
	s_add_i32 s9, s8, 1
	s_cmp_ge_u32 s12, s16
	s_cselect_b32 s20, s9, s8
.LBB0_2:
	s_load_dwordx2 s[8:9], s[4:5], 0x10
	s_load_dwordx2 s[18:19], s[6:7], 0x8
	s_mov_b64 s[12:13], s[20:21]
	s_waitcnt lgkmcnt(0)
	v_mov_b64_e32 v[2:3], s[8:9]
	v_cmp_lt_u64_e32 vcc, s[20:21], v[2:3]
	s_cbranch_vccnz .LBB0_4
; %bb.3:
	v_cvt_f32_u32_e32 v1, s8
	s_sub_i32 s4, 0, s8
	v_rcp_iflag_f32_e32 v1, v1
	s_nop 0
	v_mul_f32_e32 v1, 0x4f7ffffe, v1
	v_cvt_u32_f32_e32 v1, v1
	s_nop 0
	v_readfirstlane_b32 s5, v1
	s_mul_i32 s4, s4, s5
	s_mul_hi_u32 s4, s5, s4
	s_add_i32 s5, s5, s4
	s_mul_hi_u32 s4, s20, s5
	s_mul_i32 s4, s4, s8
	s_sub_i32 s4, s20, s4
	s_sub_i32 s5, s4, s8
	s_cmp_ge_u32 s4, s8
	s_cselect_b32 s4, s5, s4
	s_sub_i32 s5, s4, s8
	s_cmp_ge_u32 s4, s8
	s_cselect_b32 s12, s5, s4
.LBB0_4:
	s_mul_i32 s13, s8, s17
	s_mul_hi_u32 s14, s8, s16
	s_add_i32 s13, s14, s13
	s_mul_i32 s9, s9, s16
	s_load_dwordx2 s[4:5], s[0:1], 0x58
	s_add_i32 s25, s13, s9
	s_mul_i32 s24, s8, s16
	s_load_dwordx2 s[8:9], s[6:7], 0x0
	s_load_dwordx2 s[22:23], s[6:7], 0x10
	v_mov_b64_e32 v[2:3], s[24:25]
	v_cmp_lt_u64_e32 vcc, s[2:3], v[2:3]
	s_mov_b64 s[14:15], 0
	s_cbranch_vccnz .LBB0_6
; %bb.5:
	v_cvt_f32_u32_e32 v1, s24
	s_sub_i32 s3, 0, s24
	v_rcp_iflag_f32_e32 v1, v1
	s_nop 0
	v_mul_f32_e32 v1, 0x4f7ffffe, v1
	v_cvt_u32_f32_e32 v1, v1
	s_waitcnt lgkmcnt(0)
	v_readfirstlane_b32 s9, v1
	s_mul_i32 s3, s3, s9
	s_mul_hi_u32 s3, s9, s3
	s_add_i32 s9, s9, s3
	s_mul_hi_u32 s3, s2, s9
	s_mul_i32 s13, s3, s24
	s_sub_i32 s13, s2, s13
	s_add_i32 s9, s3, 1
	s_sub_i32 s14, s13, s24
	s_cmp_ge_u32 s13, s24
	s_cselect_b32 s3, s9, s3
	s_cselect_b32 s13, s14, s13
	s_add_i32 s9, s3, 1
	s_cmp_ge_u32 s13, s24
	s_cselect_b32 s14, s9, s3
.LBB0_6:
	s_mul_i32 s3, s20, s17
	s_waitcnt lgkmcnt(0)
	s_mul_hi_u32 s9, s20, s16
	s_add_i32 s9, s9, s3
	s_mul_i32 s3, s20, s16
	s_sub_u32 s2, s2, s3
	s_subb_u32 s3, 0, s9
	v_mov_b32_e32 v1, s2
	s_lshl_b64 s[16:17], s[2:3], 4
	v_alignbit_b32 v1, s3, v1, 28
	v_mul_lo_u32 v1, s18, v1
	s_mul_hi_u32 s2, s18, s16
	v_add_u32_e32 v1, s2, v1
	s_mul_i32 s2, s19, s16
	v_add_u32_e32 v3, s2, v1
	s_mul_i32 s2, s18, s16
	v_mov_b32_e32 v2, s2
	s_load_dwordx2 s[2:3], s[6:7], 0x18
	s_mul_i32 s9, s23, s12
	s_mul_hi_u32 s6, s22, s12
	s_add_i32 s7, s6, s9
	s_mul_i32 s6, s22, s12
	v_lshl_add_u64 v[2:3], s[6:7], 0, v[2:3]
	s_waitcnt lgkmcnt(0)
	s_mul_i32 s3, s3, s14
	s_mul_hi_u32 s6, s2, s14
	s_add_i32 s3, s6, s3
	s_mul_i32 s2, s2, s14
	v_lshl_add_u64 v[50:51], s[2:3], 0, v[2:3]
	s_add_u32 s2, s16, 16
	v_and_b32_e32 v1, 15, v0
	s_addc_u32 s3, s17, 0
	v_mov_b64_e32 v[4:5], s[10:11]
	v_or_b32_e32 v104, s16, v1
	v_mov_b32_e32 v105, s17
	v_cmp_le_u64_e32 vcc, s[2:3], v[4:5]
	v_mad_u64_u32 v[52:53], s[2:3], s18, v1, 0
	v_cmp_gt_u64_e64 s[2:3], s[10:11], v[104:105]
	v_mov_b64_e32 v[4:5], 0
	v_mov_b32_e32 v3, 0
	v_lshrrev_b32_e32 v68, 4, v0
	s_or_b64 s[18:19], vcc, s[2:3]
	v_mov_b64_e32 v[8:9], v[4:5]
	v_mov_b64_e32 v[6:7], v[4:5]
	s_and_saveexec_b64 s[2:3], s[18:19]
	s_cbranch_execz .LBB0_8
; %bb.7:
	v_mul_lo_u32 v2, s8, v68
	v_add3_u32 v2, v50, v52, v2
	v_lshl_add_u64 v[2:3], v[2:3], 4, s[4:5]
	global_load_dwordx4 v[6:9], v[2:3], off
.LBB0_8:
	s_or_b64 exec, exec, s[2:3]
	v_add_u32_e32 v51, 24, v68
	v_mov_b64_e32 v[2:3], v[4:5]
	s_and_saveexec_b64 s[2:3], s[18:19]
	s_cbranch_execz .LBB0_10
; %bb.9:
	v_mul_lo_u32 v2, s8, v51
	v_add3_u32 v2, v50, v52, v2
	v_mov_b32_e32 v3, 0
	v_lshl_add_u64 v[2:3], v[2:3], 4, s[4:5]
	global_load_dwordx4 v[2:5], v[2:3], off
.LBB0_10:
	s_or_b64 exec, exec, s[2:3]
	v_mov_b64_e32 v[20:21], 0
	v_mov_b64_e32 v[24:25], v[20:21]
	;; [unrolled: 1-line block ×3, first 2 shown]
	s_and_saveexec_b64 s[2:3], s[18:19]
	s_cbranch_execz .LBB0_12
; %bb.11:
	v_add_u32_e32 v10, 48, v68
	v_mul_lo_u32 v10, s8, v10
	v_add3_u32 v10, v50, v52, v10
	v_mov_b32_e32 v11, 0
	v_lshl_add_u64 v[10:11], v[10:11], 4, s[4:5]
	global_load_dwordx4 v[22:25], v[10:11], off
.LBB0_12:
	s_or_b64 exec, exec, s[2:3]
	v_mov_b64_e32 v[18:19], v[20:21]
	s_and_saveexec_b64 s[2:3], s[18:19]
	s_cbranch_execz .LBB0_14
; %bb.13:
	v_add_u32_e32 v10, 0x48, v68
	v_mul_lo_u32 v10, s8, v10
	v_add3_u32 v10, v50, v52, v10
	v_mov_b32_e32 v11, 0
	v_lshl_add_u64 v[10:11], v[10:11], 4, s[4:5]
	global_load_dwordx4 v[18:21], v[10:11], off
.LBB0_14:
	s_or_b64 exec, exec, s[2:3]
	v_mov_b64_e32 v[16:17], 0
	v_add_u32_e32 v105, 8, v68
	v_mov_b64_e32 v[12:13], v[16:17]
	v_mov_b64_e32 v[10:11], v[16:17]
	s_and_saveexec_b64 s[2:3], s[18:19]
	s_cbranch_execz .LBB0_16
; %bb.15:
	v_mul_lo_u32 v10, s8, v105
	v_add3_u32 v10, v50, v52, v10
	v_mov_b32_e32 v11, 0
	v_lshl_add_u64 v[10:11], v[10:11], 4, s[4:5]
	global_load_dwordx4 v[10:13], v[10:11], off
.LBB0_16:
	s_or_b64 exec, exec, s[2:3]
	v_add_u32_e32 v53, 32, v68
	v_mov_b64_e32 v[14:15], v[16:17]
	s_and_saveexec_b64 s[2:3], s[18:19]
	s_cbranch_execz .LBB0_18
; %bb.17:
	v_mul_lo_u32 v14, s8, v53
	v_add3_u32 v14, v50, v52, v14
	v_mov_b32_e32 v15, 0
	v_lshl_add_u64 v[14:15], v[14:15], 4, s[4:5]
	global_load_dwordx4 v[14:17], v[14:15], off
.LBB0_18:
	s_or_b64 exec, exec, s[2:3]
	v_mov_b64_e32 v[36:37], 0
	v_mov_b64_e32 v[28:29], v[36:37]
	;; [unrolled: 1-line block ×3, first 2 shown]
	s_and_saveexec_b64 s[2:3], s[18:19]
	s_cbranch_execz .LBB0_20
; %bb.19:
	v_add_u32_e32 v26, 56, v68
	v_mul_lo_u32 v26, s8, v26
	v_add3_u32 v26, v50, v52, v26
	v_mov_b32_e32 v27, 0
	v_lshl_add_u64 v[26:27], v[26:27], 4, s[4:5]
	global_load_dwordx4 v[26:29], v[26:27], off
.LBB0_20:
	s_or_b64 exec, exec, s[2:3]
	v_mov_b64_e32 v[34:35], v[36:37]
	s_and_saveexec_b64 s[2:3], s[18:19]
	s_cbranch_execz .LBB0_22
; %bb.21:
	v_add_u32_e32 v30, 0x50, v68
	v_mul_lo_u32 v30, s8, v30
	v_add3_u32 v30, v50, v52, v30
	v_mov_b32_e32 v31, 0
	v_lshl_add_u64 v[30:31], v[30:31], 4, s[4:5]
	global_load_dwordx4 v[34:37], v[30:31], off
.LBB0_22:
	s_or_b64 exec, exec, s[2:3]
	v_mov_b64_e32 v[40:41], 0
	v_add_u32_e32 v110, 16, v68
	v_mov_b64_e32 v[32:33], v[40:41]
	v_mov_b64_e32 v[30:31], v[40:41]
	s_and_saveexec_b64 s[2:3], s[18:19]
	s_cbranch_execz .LBB0_24
; %bb.23:
	v_mul_lo_u32 v30, s8, v110
	v_add3_u32 v30, v50, v52, v30
	v_mov_b32_e32 v31, 0
	v_lshl_add_u64 v[30:31], v[30:31], 4, s[4:5]
	global_load_dwordx4 v[30:33], v[30:31], off
.LBB0_24:
	s_or_b64 exec, exec, s[2:3]
	v_add_u32_e32 v54, 40, v68
	v_mov_b64_e32 v[38:39], v[40:41]
	s_and_saveexec_b64 s[2:3], s[18:19]
	s_cbranch_execz .LBB0_26
; %bb.25:
	v_mul_lo_u32 v38, s8, v54
	v_add3_u32 v38, v50, v52, v38
	v_mov_b32_e32 v39, 0
	v_lshl_add_u64 v[38:39], v[38:39], 4, s[4:5]
	global_load_dwordx4 v[38:41], v[38:39], off
.LBB0_26:
	s_or_b64 exec, exec, s[2:3]
	s_load_dwordx2 s[6:7], s[0:1], 0x20
	s_load_dwordx2 s[2:3], s[0:1], 0x0
	v_mov_b64_e32 v[48:49], 0
	v_mov_b64_e32 v[44:45], v[48:49]
	;; [unrolled: 1-line block ×3, first 2 shown]
	s_and_saveexec_b64 s[10:11], s[18:19]
	s_cbranch_execz .LBB0_28
; %bb.27:
	v_or_b32_e32 v42, 64, v68
	v_mul_lo_u32 v42, s8, v42
	v_add3_u32 v42, v50, v52, v42
	v_mov_b32_e32 v43, 0
	v_lshl_add_u64 v[42:43], v[42:43], 4, s[4:5]
	global_load_dwordx4 v[42:45], v[42:43], off
.LBB0_28:
	s_or_b64 exec, exec, s[10:11]
	v_mov_b64_e32 v[46:47], v[48:49]
	s_and_saveexec_b64 s[10:11], s[18:19]
	s_cbranch_execz .LBB0_30
; %bb.29:
	v_add_u32_e32 v46, 0x58, v68
	v_mul_lo_u32 v46, s8, v46
	v_add3_u32 v46, v50, v52, v46
	v_mov_b32_e32 v47, 0
	v_lshl_add_u64 v[46:47], v[46:47], 4, s[4:5]
	global_load_dwordx4 v[46:49], v[46:47], off
.LBB0_30:
	s_or_b64 exec, exec, s[10:11]
	s_waitcnt vmcnt(0)
	v_add_f64 v[22:23], v[6:7], -v[22:23]
	v_add_f64 v[18:19], v[2:3], -v[18:19]
	v_add_f64 v[24:25], v[8:9], -v[24:25]
	v_fma_f64 v[6:7], v[6:7], 2.0, -v[22:23]
	v_add_f64 v[20:21], v[4:5], -v[20:21]
	v_fma_f64 v[2:3], v[2:3], 2.0, -v[18:19]
	v_fma_f64 v[8:9], v[8:9], 2.0, -v[24:25]
	;; [unrolled: 1-line block ×3, first 2 shown]
	v_add_f64 v[2:3], v[6:7], -v[2:3]
	v_add_f64 v[56:57], v[8:9], -v[4:5]
	v_fma_f64 v[4:5], v[6:7], 2.0, -v[2:3]
	v_add_f64 v[6:7], v[22:23], v[20:21]
	v_lshlrev_b32_e32 v20, 9, v68
	v_lshlrev_b32_e32 v50, 3, v1
	v_fma_f64 v[58:59], v[8:9], 2.0, -v[56:57]
	v_add_f64 v[60:61], v[24:25], -v[18:19]
	v_fma_f64 v[8:9], v[22:23], 2.0, -v[6:7]
	v_add_f64 v[18:19], v[10:11], -v[26:27]
	v_add3_u32 v52, 0, v20, v50
	ds_write2_b64 v52, v[4:5], v[8:9] offset1:16
	v_fma_f64 v[4:5], v[10:11], 2.0, -v[18:19]
	v_add_f64 v[10:11], v[14:15], -v[34:35]
	v_fma_f64 v[22:23], v[24:25], 2.0, -v[60:61]
	v_add_f64 v[24:25], v[16:17], -v[36:37]
	;; [unrolled: 2-line block ×3, first 2 shown]
	ds_write2_b64 v52, v[2:3], v[6:7] offset0:32 offset1:48
	v_add_f64 v[2:3], v[18:19], v[24:25]
	v_lshlrev_b32_e32 v14, 9, v105
	v_fma_f64 v[4:5], v[4:5], 2.0, -v[8:9]
	v_fma_f64 v[6:7], v[18:19], 2.0, -v[2:3]
	v_add3_u32 v55, 0, v14, v50
	ds_write2_b64 v55, v[4:5], v[6:7] offset1:16
	v_add_f64 v[4:5], v[30:31], -v[42:43]
	v_add_f64 v[14:15], v[38:39], -v[46:47]
	;; [unrolled: 1-line block ×3, first 2 shown]
	v_fma_f64 v[6:7], v[30:31], 2.0, -v[4:5]
	ds_write2_b64 v55, v[8:9], v[2:3] offset0:32 offset1:48
	v_fma_f64 v[2:3], v[38:39], 2.0, -v[14:15]
	v_add_f64 v[2:3], v[6:7], -v[2:3]
	v_add_f64 v[8:9], v[4:5], v[26:27]
	v_lshlrev_b32_e32 v18, 9, v110
	v_fma_f64 v[6:7], v[6:7], 2.0, -v[2:3]
	v_fma_f64 v[4:5], v[4:5], 2.0, -v[8:9]
	v_add3_u32 v48, 0, v18, v50
	s_waitcnt lgkmcnt(0)
	s_load_dwordx8 s[4:11], s[6:7], 0x0
	ds_write2_b64 v48, v[6:7], v[4:5] offset1:16
	ds_write2_b64 v48, v[2:3], v[8:9] offset0:32 offset1:48
	v_lshlrev_b32_e32 v2, 7, v51
	v_add3_u32 v70, 0, v2, v50
	v_lshlrev_b32_e32 v2, 7, v53
	s_waitcnt lgkmcnt(0)
	s_movk_i32 s5, 0xfe80
	v_add3_u32 v62, 0, v2, v50
	v_lshlrev_b32_e32 v2, 7, v54
	v_fma_f64 v[16:17], v[16:17], 2.0, -v[24:25]
	v_add_f64 v[24:25], v[12:13], -v[28:29]
	s_barrier
	v_mad_i32_i24 v69, v68, s5, v52
	v_mad_i32_i24 v66, v105, s5, v55
	;; [unrolled: 1-line block ×3, first 2 shown]
	v_add3_u32 v63, 0, v2, v50
	ds_read_b64 v[30:31], v70
	ds_read_b64 v[34:35], v62
	;; [unrolled: 1-line block ×5, first 2 shown]
	ds_read_b64 v[46:47], v69 offset:11264
	ds_read2st64_b64 v[2:5], v69 offset1:12
	ds_read2st64_b64 v[6:9], v69 offset0:14 offset1:16
	ds_read2st64_b64 v[18:21], v69 offset0:18 offset1:20
	s_waitcnt lgkmcnt(0)
	s_barrier
	ds_write2_b64 v52, v[58:59], v[22:23] offset1:16
	ds_write2_b64 v52, v[56:57], v[60:61] offset0:32 offset1:48
	v_fma_f64 v[22:23], v[40:41], 2.0, -v[26:27]
	v_fma_f64 v[12:13], v[12:13], 2.0, -v[24:25]
	v_add_f64 v[26:27], v[32:33], -v[44:45]
	v_add_f64 v[16:17], v[12:13], -v[16:17]
	;; [unrolled: 1-line block ×3, first 2 shown]
	v_fma_f64 v[28:29], v[32:33], 2.0, -v[26:27]
	v_fma_f64 v[12:13], v[12:13], 2.0, -v[16:17]
	;; [unrolled: 1-line block ×3, first 2 shown]
	v_add_f64 v[22:23], v[28:29], -v[22:23]
	v_add_f64 v[14:15], v[26:27], -v[14:15]
	v_bfe_u32 v52, v0, 4, 2
	v_fma_f64 v[28:29], v[28:29], 2.0, -v[22:23]
	v_fma_f64 v[26:27], v[26:27], 2.0, -v[14:15]
	ds_write2_b64 v55, v[12:13], v[24:25] offset1:16
	ds_write2_b64 v55, v[16:17], v[10:11] offset0:32 offset1:48
	ds_write2_b64 v48, v[28:29], v[26:27] offset1:16
	ds_write2_b64 v48, v[22:23], v[14:15] offset0:32 offset1:48
	v_lshlrev_b32_e32 v10, 4, v52
	s_waitcnt lgkmcnt(0)
	s_barrier
	global_load_dwordx4 v[10:13], v10, s[2:3]
	ds_read2st64_b64 v[14:17], v69 offset0:14 offset1:16
	ds_read2st64_b64 v[22:25], v69 offset0:18 offset1:20
	ds_read_b64 v[40:41], v70
	s_movk_i32 s5, 0x78
	s_mov_b32 s20, 0xe8584caa
	s_mov_b32 s21, 0xbfebb67a
	;; [unrolled: 1-line block ×4, first 2 shown]
	s_waitcnt vmcnt(0) lgkmcnt(2)
	v_mul_f64 v[26:27], v[14:15], v[12:13]
	v_fmac_f64_e32 v[26:27], v[6:7], v[10:11]
	v_mul_f64 v[6:7], v[6:7], v[12:13]
	v_fma_f64 v[28:29], v[14:15], v[10:11], -v[6:7]
	v_mul_f64 v[6:7], v[8:9], v[12:13]
	v_mul_f64 v[14:15], v[16:17], v[12:13]
	v_fma_f64 v[32:33], v[16:17], v[10:11], -v[6:7]
	s_waitcnt lgkmcnt(1)
	v_mul_f64 v[16:17], v[22:23], v[12:13]
	v_fmac_f64_e32 v[16:17], v[18:19], v[10:11]
	v_mul_f64 v[6:7], v[18:19], v[12:13]
	v_mul_f64 v[18:19], v[24:25], v[12:13]
	v_fmac_f64_e32 v[14:15], v[8:9], v[10:11]
	v_fmac_f64_e32 v[18:19], v[20:21], v[10:11]
	v_mul_f64 v[8:9], v[20:21], v[12:13]
	ds_read_b64 v[20:21], v69 offset:11264
	v_fma_f64 v[22:23], v[22:23], v[10:11], -v[6:7]
	v_fma_f64 v[24:25], v[24:25], v[10:11], -v[8:9]
	ds_read2st64_b64 v[6:9], v69 offset1:12
	ds_read_b64 v[44:45], v67
	ds_read_b64 v[48:49], v66
	;; [unrolled: 1-line block ×4, first 2 shown]
	s_waitcnt lgkmcnt(5)
	v_mul_f64 v[56:57], v[20:21], v[12:13]
	v_fmac_f64_e32 v[56:57], v[46:47], v[10:11]
	v_mul_f64 v[46:47], v[46:47], v[12:13]
	v_fma_f64 v[46:47], v[20:21], v[10:11], -v[46:47]
	s_waitcnt lgkmcnt(4)
	v_mul_f64 v[20:21], v[8:9], v[12:13]
	v_fmac_f64_e32 v[20:21], v[4:5], v[10:11]
	v_mul_f64 v[4:5], v[4:5], v[12:13]
	v_fma_f64 v[4:5], v[8:9], v[10:11], -v[4:5]
	v_lshlrev_b32_e32 v10, 1, v68
	v_and_or_b32 v10, v10, s5, v52
	v_lshlrev_b32_e32 v10, 7, v10
	v_add3_u32 v55, 0, v10, v50
	s_movk_i32 s5, 0xf8
	v_lshlrev_b32_e32 v10, 1, v105
	v_add_f64 v[8:9], v[2:3], -v[20:21]
	v_and_or_b32 v10, v10, s5, v52
	v_fma_f64 v[2:3], v[2:3], 2.0, -v[8:9]
	v_lshlrev_b32_e32 v10, 7, v10
	s_waitcnt lgkmcnt(0)
	s_barrier
	ds_write2st64_b64 v55, v[2:3], v[8:9] offset1:1
	v_add_f64 v[2:3], v[42:43], -v[26:27]
	v_add3_u32 v63, 0, v10, v50
	v_add_f64 v[10:11], v[34:35], -v[18:19]
	v_lshlrev_b32_e32 v18, 1, v110
	v_fma_f64 v[8:9], v[42:43], 2.0, -v[2:3]
	v_and_or_b32 v18, v18, s5, v52
	ds_write2st64_b64 v63, v[8:9], v[2:3] offset1:1
	v_add_f64 v[2:3], v[38:39], -v[14:15]
	v_lshlrev_b32_e32 v18, 7, v18
	v_add_f64 v[26:27], v[6:7], -v[4:5]
	v_fma_f64 v[4:5], v[38:39], 2.0, -v[2:3]
	v_add_f64 v[14:15], v[36:37], -v[56:57]
	v_add3_u32 v56, 0, v18, v50
	ds_write2st64_b64 v56, v[4:5], v[2:3] offset1:1
	v_lshlrev_b32_e32 v2, 1, v51
	v_and_or_b32 v2, v2, s5, v52
	v_lshlrev_b32_e32 v2, 7, v2
	v_add3_u32 v57, 0, v2, v50
	v_lshlrev_b32_e32 v2, 1, v53
	v_and_or_b32 v2, v2, s5, v52
	v_lshlrev_b32_e32 v2, 7, v2
	v_add3_u32 v64, 0, v2, v50
	v_lshlrev_b32_e32 v2, 1, v54
	v_and_or_b32 v2, v2, s5, v52
	v_fma_f64 v[42:43], v[6:7], 2.0, -v[26:27]
	v_add_f64 v[6:7], v[30:31], -v[16:17]
	v_lshlrev_b32_e32 v2, 7, v2
	v_fma_f64 v[8:9], v[30:31], 2.0, -v[6:7]
	v_fma_f64 v[12:13], v[34:35], 2.0, -v[10:11]
	;; [unrolled: 1-line block ×3, first 2 shown]
	v_add3_u32 v54, 0, v2, v50
	ds_write2st64_b64 v57, v[8:9], v[6:7] offset1:1
	ds_write2st64_b64 v64, v[12:13], v[10:11] offset1:1
	;; [unrolled: 1-line block ×3, first 2 shown]
	s_waitcnt lgkmcnt(0)
	s_barrier
	ds_read2st64_b64 v[6:9], v69 offset1:10
	ds_read2st64_b64 v[10:13], v69 offset0:16 offset1:18
	ds_read_b64 v[38:39], v66
	ds_read_b64 v[4:5], v67
	ds_read2st64_b64 v[14:17], v69 offset0:12 offset1:14
	ds_read_b64 v[52:53], v62
	ds_read_b64 v[2:3], v70
	ds_read2st64_b64 v[18:21], v69 offset0:20 offset1:22
	s_waitcnt lgkmcnt(0)
	s_barrier
	ds_write2st64_b64 v55, v[42:43], v[26:27] offset1:1
	v_add_f64 v[26:27], v[48:49], -v[28:29]
	v_fma_f64 v[28:29], v[48:49], 2.0, -v[26:27]
	ds_write2st64_b64 v63, v[28:29], v[26:27] offset1:1
	v_add_f64 v[26:27], v[44:45], -v[32:33]
	v_add_f64 v[22:23], v[40:41], -v[22:23]
	;; [unrolled: 1-line block ×3, first 2 shown]
	v_fma_f64 v[28:29], v[44:45], 2.0, -v[26:27]
	v_fma_f64 v[30:31], v[40:41], 2.0, -v[22:23]
	;; [unrolled: 1-line block ×3, first 2 shown]
	v_add_f64 v[34:35], v[58:59], -v[46:47]
	v_bfe_u32 v60, v0, 4, 3
	v_fma_f64 v[36:37], v[58:59], 2.0, -v[34:35]
	ds_write2st64_b64 v56, v[28:29], v[26:27] offset1:1
	ds_write2st64_b64 v57, v[30:31], v[22:23] offset1:1
	;; [unrolled: 1-line block ×4, first 2 shown]
	v_lshlrev_b32_e32 v30, 5, v60
	s_waitcnt lgkmcnt(0)
	s_barrier
	global_load_dwordx4 v[22:25], v30, s[2:3] offset:80
	global_load_dwordx4 v[26:29], v30, s[2:3] offset:64
	ds_read2st64_b64 v[30:33], v69 offset0:16 offset1:18
	ds_read2st64_b64 v[34:37], v69 offset0:20 offset1:22
	s_waitcnt vmcnt(1) lgkmcnt(1)
	v_mul_f64 v[40:41], v[30:31], v[24:25]
	v_fmac_f64_e32 v[40:41], v[10:11], v[22:23]
	v_mul_f64 v[10:11], v[10:11], v[24:25]
	v_fma_f64 v[30:31], v[30:31], v[22:23], -v[10:11]
	v_mul_f64 v[10:11], v[12:13], v[24:25]
	s_waitcnt lgkmcnt(0)
	v_mul_f64 v[44:45], v[34:35], v[24:25]
	v_mul_f64 v[42:43], v[32:33], v[24:25]
	v_fma_f64 v[32:33], v[32:33], v[22:23], -v[10:11]
	v_fmac_f64_e32 v[44:45], v[18:19], v[22:23]
	v_mul_f64 v[10:11], v[18:19], v[24:25]
	ds_read_b64 v[18:19], v62
	v_fma_f64 v[34:35], v[34:35], v[22:23], -v[10:11]
	v_mul_f64 v[46:47], v[36:37], v[24:25]
	v_mul_f64 v[10:11], v[20:21], v[24:25]
	v_fmac_f64_e32 v[42:43], v[12:13], v[22:23]
	v_fmac_f64_e32 v[46:47], v[20:21], v[22:23]
	v_fma_f64 v[36:37], v[36:37], v[22:23], -v[10:11]
	s_waitcnt vmcnt(0)
	v_mul_f64 v[22:23], v[52:53], v[28:29]
	ds_read2st64_b64 v[10:13], v69 offset0:12 offset1:14
	ds_read_b64 v[48:49], v70
	s_waitcnt lgkmcnt(2)
	v_mul_f64 v[20:21], v[18:19], v[28:29]
	v_fma_f64 v[18:19], v[18:19], v[26:27], -v[22:23]
	ds_read2st64_b64 v[22:25], v69 offset1:10
	v_fmac_f64_e32 v[20:21], v[52:53], v[26:27]
	s_waitcnt lgkmcnt(2)
	v_mul_f64 v[52:53], v[10:11], v[28:29]
	v_fmac_f64_e32 v[52:53], v[14:15], v[26:27]
	v_mul_f64 v[14:15], v[14:15], v[28:29]
	s_waitcnt lgkmcnt(0)
	v_mul_f64 v[56:57], v[24:25], v[28:29]
	v_fma_f64 v[14:15], v[10:11], v[26:27], -v[14:15]
	v_fmac_f64_e32 v[56:57], v[8:9], v[26:27]
	v_mul_f64 v[8:9], v[8:9], v[28:29]
	v_add_f64 v[10:11], v[20:21], v[40:41]
	v_fma_f64 v[24:25], v[24:25], v[26:27], -v[8:9]
	v_add_f64 v[8:9], v[6:7], v[20:21]
	v_fmac_f64_e32 v[6:7], -0.5, v[10:11]
	v_lshrrev_b32_e32 v10, 7, v0
	v_mul_u32_u24_e32 v10, 24, v10
	v_or_b32_e32 v10, v10, v60
	v_mul_f64 v[54:55], v[12:13], v[28:29]
	v_lshlrev_b32_e32 v10, 7, v10
	v_fmac_f64_e32 v[54:55], v[16:17], v[26:27]
	v_mul_f64 v[16:17], v[16:17], v[28:29]
	v_add3_u32 v64, 0, v10, v50
	v_add_f64 v[10:11], v[18:19], -v[30:31]
	v_fma_f64 v[16:17], v[12:13], v[26:27], -v[16:17]
	v_add_f64 v[8:9], v[8:9], v[40:41]
	v_fma_f64 v[12:13], s[20:21], v[10:11], v[6:7]
	ds_read_b64 v[28:29], v66
	ds_read_b64 v[58:59], v67
	s_waitcnt lgkmcnt(0)
	s_barrier
	ds_write2st64_b64 v64, v[8:9], v[12:13] offset1:2
	v_fmac_f64_e32 v[6:7], s[22:23], v[10:11]
	v_add_f64 v[8:9], v[56:57], v[42:43]
	ds_write_b64 v64, v[6:7] offset:2048
	v_add_f64 v[6:7], v[38:39], v[56:57]
	v_fmac_f64_e32 v[38:39], -0.5, v[8:9]
	v_lshrrev_b32_e32 v8, 3, v105
	v_mul_u32_u24_e32 v8, 24, v8
	v_or_b32_e32 v8, v8, v60
	v_lshlrev_b32_e32 v8, 7, v8
	v_add3_u32 v65, 0, v8, v50
	v_add_f64 v[8:9], v[24:25], -v[32:33]
	v_add_f64 v[6:7], v[6:7], v[42:43]
	v_fma_f64 v[10:11], s[20:21], v[8:9], v[38:39]
	v_fmac_f64_e32 v[38:39], s[22:23], v[8:9]
	v_add_f64 v[8:9], v[52:53], v[44:45]
	ds_write2st64_b64 v65, v[6:7], v[10:11] offset1:2
	v_add_f64 v[6:7], v[4:5], v[52:53]
	v_fmac_f64_e32 v[4:5], -0.5, v[8:9]
	v_lshrrev_b32_e32 v8, 3, v110
	v_mul_u32_u24_e32 v8, 24, v8
	v_or_b32_e32 v8, v8, v60
	v_lshlrev_b32_e32 v8, 7, v8
	v_add3_u32 v71, 0, v8, v50
	v_add_f64 v[8:9], v[14:15], -v[34:35]
	v_add_f64 v[6:7], v[6:7], v[44:45]
	v_fma_f64 v[10:11], s[20:21], v[8:9], v[4:5]
	ds_write_b64 v65, v[38:39] offset:2048
	ds_write2st64_b64 v71, v[6:7], v[10:11] offset1:2
	v_add_f64 v[6:7], v[22:23], v[18:19]
	v_add_f64 v[38:39], v[6:7], v[30:31]
	;; [unrolled: 1-line block ×3, first 2 shown]
	v_fmac_f64_e32 v[22:23], -0.5, v[6:7]
	v_fmac_f64_e32 v[4:5], s[22:23], v[8:9]
	v_add_f64 v[6:7], v[2:3], v[54:55]
	ds_write_b64 v71, v[4:5] offset:2048
	v_add_f64 v[4:5], v[6:7], v[46:47]
	v_lshrrev_b32_e32 v6, 3, v51
	v_mul_u32_u24_e32 v6, 24, v6
	v_add_f64 v[8:9], v[54:55], v[46:47]
	v_or_b32_e32 v6, v6, v60
	v_fmac_f64_e32 v[2:3], -0.5, v[8:9]
	v_add_f64 v[8:9], v[16:17], -v[36:37]
	v_lshlrev_b32_e32 v6, 7, v6
	v_fma_f64 v[10:11], s[20:21], v[8:9], v[2:3]
	v_fmac_f64_e32 v[2:3], s[22:23], v[8:9]
	v_add3_u32 v50, 0, v6, v50
	v_add_f64 v[30:31], v[20:21], -v[40:41]
	ds_write2st64_b64 v50, v[4:5], v[10:11] offset1:2
	ds_write_b64 v50, v[2:3] offset:2048
	s_waitcnt lgkmcnt(0)
	s_barrier
	ds_read_b64 v[106:107], v70
	ds_read_b64 v[26:27], v67
	;; [unrolled: 1-line block ×3, first 2 shown]
	ds_read_b64 v[62:63], v69 offset:11264
	ds_read2st64_b64 v[2:5], v69 offset1:8
	ds_read2st64_b64 v[10:13], v69 offset0:10 offset1:12
	ds_read2st64_b64 v[6:9], v69 offset0:18 offset1:20
	;; [unrolled: 1-line block ×3, first 2 shown]
	v_fma_f64 v[40:41], s[22:23], v[30:31], v[22:23]
	v_fmac_f64_e32 v[22:23], s[20:21], v[30:31]
	v_add_f64 v[30:31], v[28:29], v[24:25]
	v_add_f64 v[24:25], v[24:25], v[32:33]
	v_fmac_f64_e32 v[28:29], -0.5, v[24:25]
	v_add_f64 v[24:25], v[56:57], -v[42:43]
	v_add_f64 v[30:31], v[30:31], v[32:33]
	v_fma_f64 v[32:33], s[22:23], v[24:25], v[28:29]
	v_fmac_f64_e32 v[28:29], s[20:21], v[24:25]
	v_add_f64 v[24:25], v[58:59], v[14:15]
	v_add_f64 v[14:15], v[14:15], v[34:35]
	v_fmac_f64_e32 v[58:59], -0.5, v[14:15]
	v_add_f64 v[14:15], v[52:53], -v[44:45]
	v_add_f64 v[24:25], v[24:25], v[34:35]
	v_fma_f64 v[34:35], s[22:23], v[14:15], v[58:59]
	v_fmac_f64_e32 v[58:59], s[20:21], v[14:15]
	v_add_f64 v[14:15], v[48:49], v[16:17]
	v_add_f64 v[16:17], v[16:17], v[36:37]
	v_fmac_f64_e32 v[48:49], -0.5, v[16:17]
	v_add_f64 v[16:17], v[54:55], -v[46:47]
	s_waitcnt lgkmcnt(0)
	s_barrier
	ds_write2st64_b64 v64, v[38:39], v[40:41] offset1:2
	v_add_f64 v[14:15], v[14:15], v[36:37]
	v_fma_f64 v[36:37], s[22:23], v[16:17], v[48:49]
	v_fmac_f64_e32 v[48:49], s[20:21], v[16:17]
	ds_write_b64 v64, v[22:23] offset:2048
	ds_write2st64_b64 v65, v[30:31], v[32:33] offset1:2
	ds_write_b64 v65, v[28:29] offset:2048
	ds_write2st64_b64 v71, v[24:25], v[34:35] offset1:2
	;; [unrolled: 2-line block ×3, first 2 shown]
	ds_write_b64 v50, v[48:49] offset:2048
	s_waitcnt lgkmcnt(0)
	s_barrier
	s_and_saveexec_b64 s[20:21], s[18:19]
	s_cbranch_execz .LBB0_32
; %bb.31:
	s_movk_i32 s5, 0xab
	v_mul_lo_u16_sdwa v14, v110, s5 dst_sel:DWORD dst_unused:UNUSED_PAD src0_sel:BYTE_0 src1_sel:DWORD
	v_lshrrev_b16_e32 v111, 12, v14
	v_mul_lo_u16_e32 v14, 24, v111
	v_sub_u16_e32 v14, v110, v14
	v_and_b32_e32 v71, 0xff, v14
	s_load_dwordx2 s[18:19], s[0:1], 0x8
	v_mul_u32_u24_e32 v14, 3, v71
	v_lshlrev_b32_e32 v14, 4, v14
	global_load_dwordx4 v[32:35], v14, s[2:3] offset:336
	global_load_dwordx4 v[36:39], v14, s[2:3] offset:320
	;; [unrolled: 1-line block ×3, first 2 shown]
	v_add_u32_e32 v14, 0x48, v71
	v_mul_lo_u32 v14, v104, v14
	v_mov_b32_e32 v114, 4
	v_lshlrev_b32_sdwa v15, v114, v14 dst_sel:DWORD dst_unused:UNUSED_PAD src0_sel:DWORD src1_sel:BYTE_0
	s_waitcnt lgkmcnt(0)
	global_load_dwordx4 v[40:43], v15, s[18:19]
	v_bfe_u32 v15, v14, 8, 8
	v_mov_b32_e32 v112, 0x1000
	v_lshl_or_b32 v15, v15, 4, v112
	global_load_dwordx4 v[44:47], v15, s[18:19]
	v_add_u32_e32 v15, 48, v71
	v_mul_lo_u32 v72, v104, v15
	v_mov_b32_e32 v113, 0x2000
	v_bfe_u32 v14, v14, 16, 8
	v_lshlrev_b32_sdwa v15, v114, v72 dst_sel:DWORD dst_unused:UNUSED_PAD src0_sel:DWORD src1_sel:BYTE_0
	v_bfe_u32 v16, v72, 8, 8
	v_lshl_or_b32 v14, v14, 4, v113
	v_lshl_or_b32 v16, v16, 4, v112
	global_load_dwordx4 v[48:51], v15, s[18:19]
	global_load_dwordx4 v[52:55], v16, s[18:19]
	;; [unrolled: 1-line block ×3, first 2 shown]
	ds_read2st64_b64 v[28:31], v69 offset0:14 offset1:16
	ds_read2st64_b64 v[14:17], v69 offset0:10 offset1:12
	ds_read_b64 v[64:65], v69 offset:11264
	ds_read_b64 v[108:109], v70
	v_bfe_u32 v70, v72, 16, 8
	v_lshl_or_b32 v70, v70, 4, v113
	global_load_dwordx4 v[72:75], v70, s[18:19]
	v_add_u32_e32 v70, 24, v71
	v_mul_lo_u32 v70, v104, v70
	v_bfe_u32 v76, v70, 16, 8
	v_lshlrev_b32_sdwa v88, v114, v70 dst_sel:DWORD dst_unused:UNUSED_PAD src0_sel:DWORD src1_sel:BYTE_0
	v_bfe_u32 v70, v70, 8, 8
	v_lshl_or_b32 v89, v76, 4, v113
	v_lshl_or_b32 v70, v70, 4, v112
	global_load_dwordx4 v[76:79], v89, s[18:19]
	global_load_dwordx4 v[80:83], v88, s[18:19]
	global_load_dwordx4 v[84:87], v70, s[18:19]
	v_mul_lo_u16_sdwa v70, v105, s5 dst_sel:DWORD dst_unused:UNUSED_PAD src0_sel:BYTE_0 src1_sel:DWORD
	v_lshrrev_b16_e32 v115, 12, v70
	v_mul_lo_u16_e32 v70, 24, v115
	v_sub_u16_e32 v70, v105, v70
	v_and_b32_e32 v120, 0xff, v70
	v_mul_lo_u32 v70, v104, v71
	v_bfe_u32 v71, v70, 16, 8
	v_lshlrev_b32_sdwa v102, v114, v70 dst_sel:DWORD dst_unused:UNUSED_PAD src0_sel:DWORD src1_sel:BYTE_0
	v_bfe_u32 v70, v70, 8, 8
	ds_read_b64 v[100:101], v67
	ds_read_b64 v[66:67], v66
	v_lshl_or_b32 v71, v71, 4, v113
	v_lshl_or_b32 v70, v70, 4, v112
	global_load_dwordx4 v[88:91], v102, s[18:19]
	global_load_dwordx4 v[92:95], v70, s[18:19]
	global_load_dwordx4 v[96:99], v71, s[18:19]
	s_load_dwordx2 s[0:1], s[0:1], 0x60
	s_waitcnt vmcnt(14)
	v_mul_f64 v[70:71], v[20:21], v[34:35]
	s_waitcnt vmcnt(13) lgkmcnt(0)
	v_mul_f64 v[102:103], v[14:15], v[38:39]
	s_waitcnt vmcnt(12)
	v_mul_f64 v[116:117], v[64:65], v[24:25]
	v_mul_f64 v[38:39], v[10:11], v[38:39]
	;; [unrolled: 1-line block ×4, first 2 shown]
	v_fmac_f64_e32 v[116:117], v[62:63], v[22:23]
	v_fmac_f64_e32 v[102:103], v[10:11], v[36:37]
	v_fma_f64 v[10:11], v[14:15], v[36:37], -v[38:39]
	v_fma_f64 v[14:15], v[64:65], v[22:23], -v[24:25]
	v_fmac_f64_e32 v[34:35], v[20:21], v[32:33]
	s_waitcnt vmcnt(10)
	v_mul_f64 v[22:23], v[40:41], v[46:47]
	v_mul_f64 v[20:21], v[42:43], v[46:47]
	v_fmac_f64_e32 v[22:23], v[42:43], v[44:45]
	v_fma_f64 v[30:31], v[30:31], v[32:33], -v[70:71]
	v_add_f64 v[32:33], v[26:27], -v[34:35]
	v_fma_f64 v[20:21], v[40:41], v[44:45], -v[20:21]
	v_add_f64 v[14:15], v[10:11], -v[14:15]
	v_add_f64 v[30:31], v[100:101], -v[30:31]
	;; [unrolled: 1-line block ×3, first 2 shown]
	s_waitcnt vmcnt(8)
	v_mul_f64 v[34:35], v[50:51], v[54:55]
	s_waitcnt vmcnt(7)
	v_mul_f64 v[38:39], v[22:23], v[58:59]
	v_mul_f64 v[36:37], v[48:49], v[54:55]
	v_fma_f64 v[34:35], v[48:49], v[52:53], -v[34:35]
	v_mul_f64 v[48:49], v[20:21], v[58:59]
	v_fma_f64 v[58:59], v[56:57], v[20:21], -v[38:39]
	v_mul_u32_u24_e32 v20, 3, v120
	v_lshlrev_b32_e32 v70, 4, v20
	v_add_u32_e32 v20, 0x48, v120
	v_mul_lo_u32 v62, v104, v20
	v_lshlrev_b32_sdwa v20, v114, v62 dst_sel:DWORD dst_unused:UNUSED_PAD src0_sel:DWORD src1_sel:BYTE_0
	v_fmac_f64_e32 v[36:37], v[50:51], v[52:53]
	global_load_dwordx4 v[38:41], v70, s[2:3] offset:336
	global_load_dwordx4 v[42:45], v70, s[2:3] offset:320
	global_load_dwordx4 v[50:53], v20, s[18:19]
	v_bfe_u32 v20, v62, 8, 8
	v_fmac_f64_e32 v[48:49], v[56:57], v[22:23]
	v_lshl_or_b32 v20, v20, 4, v112
	v_add_f64 v[116:117], v[32:33], v[14:15]
	v_add_f64 v[46:47], v[30:31], -v[24:25]
	global_load_dwordx4 v[54:57], v20, s[18:19]
	v_mul_f64 v[20:21], v[116:117], v[48:49]
	v_fma_f64 v[22:23], v[46:47], v[58:59], -v[20:21]
	v_mul_f64 v[20:21], v[46:47], v[48:49]
	v_bfe_u32 v48, v62, 16, 8
	v_lshl_or_b32 v48, v48, 4, v113
	v_fma_f64 v[10:11], v[10:11], 2.0, -v[14:15]
	v_fma_f64 v[14:15], v[102:103], 2.0, -v[24:25]
	s_waitcnt vmcnt(10)
	v_mul_f64 v[24:25], v[36:37], v[74:75]
	v_fmac_f64_e32 v[20:21], v[116:117], v[58:59]
	global_load_dwordx4 v[62:65], v48, s[18:19]
	v_fma_f64 v[48:49], v[100:101], 2.0, -v[30:31]
	v_fma_f64 v[58:59], v[72:73], v[34:35], -v[24:25]
	v_fma_f64 v[118:119], v[26:27], 2.0, -v[32:33]
	v_mul_f64 v[24:25], v[34:35], v[74:75]
	v_add_f64 v[10:11], v[48:49], -v[10:11]
	v_add_f64 v[14:15], v[118:119], -v[14:15]
	v_fmac_f64_e32 v[24:25], v[72:73], v[36:37]
	v_mul_f64 v[26:27], v[14:15], v[24:25]
	v_mul_f64 v[24:25], v[10:11], v[24:25]
	global_load_dwordx4 v[100:103], v70, s[2:3] offset:352
	v_fma_f64 v[26:27], v[10:11], v[58:59], -v[26:27]
	v_fmac_f64_e32 v[24:25], v[14:15], v[58:59]
	v_add_u32_e32 v58, 48, v120
	v_mul_lo_u32 v74, v104, v58
	s_waitcnt vmcnt(9)
	v_mul_f64 v[34:35], v[82:83], v[86:87]
	v_mul_f64 v[36:37], v[80:81], v[86:87]
	v_lshlrev_b32_sdwa v58, v114, v74 dst_sel:DWORD dst_unused:UNUSED_PAD src0_sel:DWORD src1_sel:BYTE_0
	v_bfe_u32 v59, v74, 8, 8
	v_fma_f64 v[34:35], v[80:81], v[84:85], -v[34:35]
	v_fmac_f64_e32 v[36:37], v[82:83], v[84:85]
	v_lshl_or_b32 v59, v59, 4, v112
	global_load_dwordx4 v[70:73], v58, s[18:19]
	global_load_dwordx4 v[80:83], v59, s[18:19]
	v_fma_f64 v[30:31], v[30:31], 2.0, -v[46:47]
	v_mul_f64 v[46:47], v[36:37], v[78:79]
	v_fma_f64 v[46:47], v[76:77], v[34:35], -v[46:47]
	v_mul_f64 v[34:35], v[34:35], v[78:79]
	v_fma_f64 v[58:59], v[32:33], 2.0, -v[116:117]
	v_fmac_f64_e32 v[34:35], v[76:77], v[36:37]
	v_mul_f64 v[32:33], v[58:59], v[34:35]
	s_waitcnt vmcnt(9)
	v_mul_f64 v[36:37], v[88:89], v[94:95]
	v_fma_f64 v[32:33], v[30:31], v[46:47], -v[32:33]
	v_mul_f64 v[30:31], v[30:31], v[34:35]
	v_mul_f64 v[34:35], v[90:91], v[94:95]
	v_fmac_f64_e32 v[36:37], v[90:91], v[92:93]
	v_fmac_f64_e32 v[30:31], v[58:59], v[46:47]
	v_fma_f64 v[34:35], v[88:89], v[92:93], -v[34:35]
	s_waitcnt vmcnt(8)
	v_mul_f64 v[46:47], v[36:37], v[98:99]
	v_fma_f64 v[58:59], v[96:97], v[34:35], -v[46:47]
	v_mul_f64 v[34:35], v[34:35], v[98:99]
	v_fmac_f64_e32 v[34:35], v[96:97], v[36:37]
	v_bfe_u32 v36, v74, 16, 8
	v_lshl_or_b32 v36, v36, 4, v113
	global_load_dwordx4 v[74:77], v36, s[18:19]
	v_add_u32_e32 v36, 24, v120
	v_mul_lo_u32 v36, v104, v36
	v_bfe_u32 v37, v36, 16, 8
	v_lshlrev_b32_sdwa v46, v114, v36 dst_sel:DWORD dst_unused:UNUSED_PAD src0_sel:DWORD src1_sel:BYTE_0
	v_bfe_u32 v36, v36, 8, 8
	v_fma_f64 v[14:15], v[118:119], 2.0, -v[14:15]
	v_lshl_or_b32 v37, v37, 4, v113
	v_lshl_or_b32 v36, v36, 4, v112
	v_fma_f64 v[10:11], v[48:49], 2.0, -v[10:11]
	global_load_dwordx4 v[88:91], v37, s[18:19]
	global_load_dwordx4 v[92:95], v46, s[18:19]
	;; [unrolled: 1-line block ×3, first 2 shown]
	v_mul_f64 v[36:37], v[14:15], v[34:35]
	v_fma_f64 v[36:37], v[10:11], v[58:59], -v[36:37]
	v_mul_f64 v[34:35], v[10:11], v[34:35]
	v_fmac_f64_e32 v[34:35], v[14:15], v[58:59]
	ds_read2st64_b64 v[46:49], v69 offset1:8
	s_waitcnt vmcnt(11)
	v_mul_f64 v[10:11], v[18:19], v[40:41]
	v_fma_f64 v[10:11], v[28:29], v[38:39], -v[10:11]
	v_add_f64 v[14:15], v[66:67], -v[10:11]
	v_mul_f64 v[28:29], v[28:29], v[40:41]
	v_fmac_f64_e32 v[28:29], v[18:19], v[38:39]
	v_mul_lo_u32 v38, v104, v120
	v_lshlrev_b32_sdwa v18, v114, v38 dst_sel:DWORD dst_unused:UNUSED_PAD src0_sel:DWORD src1_sel:BYTE_0
	v_bfe_u32 v19, v38, 8, 8
	s_waitcnt vmcnt(8)
	v_mul_f64 v[10:11], v[52:53], v[56:57]
	v_mul_f64 v[56:57], v[50:51], v[56:57]
	v_fma_f64 v[10:11], v[50:51], v[54:55], -v[10:11]
	v_fmac_f64_e32 v[56:57], v[52:53], v[54:55]
	ds_read2st64_b64 v[50:53], v69 offset0:18 offset1:20
	v_lshl_or_b32 v19, v19, 4, v112
	global_load_dwordx4 v[120:123], v18, s[18:19]
	global_load_dwordx4 v[124:127], v19, s[18:19]
	v_bfe_u32 v38, v38, 16, 8
	s_waitcnt lgkmcnt(1)
	v_mul_f64 v[78:79], v[48:49], v[44:45]
	v_lshl_or_b32 v38, v38, 4, v113
	v_fmac_f64_e32 v[78:79], v[4:5], v[42:43]
	global_load_dwordx4 v[84:87], v38, s[18:19]
	v_mul_f64 v[4:5], v[4:5], v[44:45]
	v_fma_f64 v[4:5], v[48:49], v[42:43], -v[4:5]
	v_add_f64 v[28:29], v[60:61], -v[28:29]
	v_fma_f64 v[128:129], v[60:61], 2.0, -v[28:29]
	s_waitcnt vmcnt(9) lgkmcnt(0)
	v_mul_f64 v[18:19], v[52:53], v[102:103]
	v_fmac_f64_e32 v[18:19], v[8:9], v[100:101]
	v_add_f64 v[38:39], v[78:79], -v[18:19]
	v_mul_f64 v[18:19], v[56:57], v[64:65]
	v_fma_f64 v[40:41], v[62:63], v[10:11], -v[18:19]
	v_mul_f64 v[8:9], v[8:9], v[102:103]
	v_fma_f64 v[8:9], v[52:53], v[100:101], -v[8:9]
	v_add_f64 v[42:43], v[4:5], -v[8:9]
	v_mul_f64 v[8:9], v[10:11], v[64:65]
	v_fmac_f64_e32 v[8:9], v[62:63], v[56:57]
	v_add_f64 v[54:55], v[14:15], -v[38:39]
	v_add_f64 v[44:45], v[28:29], v[42:43]
	s_waitcnt vmcnt(7)
	v_mul_f64 v[18:19], v[72:73], v[82:83]
	v_fma_f64 v[48:49], v[70:71], v[80:81], -v[18:19]
	v_mul_lo_u16_sdwa v18, v68, s5 dst_sel:DWORD dst_unused:UNUSED_PAD src0_sel:BYTE_0 src1_sel:DWORD
	v_lshrrev_b16_e32 v18, 12, v18
	v_mul_lo_u16_e32 v18, 24, v18
	v_sub_u16_e32 v18, v68, v18
	v_and_b32_e32 v18, 0xff, v18
	v_add_u32_e32 v19, 0x48, v18
	v_mul_lo_u32 v19, v104, v19
	v_lshlrev_b32_sdwa v56, v114, v19 dst_sel:DWORD dst_unused:UNUSED_PAD src0_sel:DWORD src1_sel:BYTE_0
	global_load_dwordx4 v[96:99], v56, s[18:19]
	v_bfe_u32 v56, v19, 8, 8
	v_lshl_or_b32 v56, v56, 4, v112
	global_load_dwordx4 v[100:103], v56, s[18:19]
	v_mul_f64 v[52:53], v[70:71], v[82:83]
	v_fma_f64 v[38:39], v[78:79], 2.0, -v[38:39]
	v_mul_f64 v[10:11], v[44:45], v[8:9]
	v_mul_f64 v[8:9], v[54:55], v[8:9]
	v_fmac_f64_e32 v[52:53], v[72:73], v[80:81]
	v_fma_f64 v[72:73], v[66:67], 2.0, -v[14:15]
	v_fma_f64 v[4:5], v[4:5], 2.0, -v[42:43]
	v_add_f64 v[78:79], v[128:129], -v[38:39]
	s_waitcnt vmcnt(8)
	v_mul_f64 v[38:39], v[48:49], v[76:77]
	v_fma_f64 v[10:11], v[54:55], v[40:41], -v[10:11]
	v_fmac_f64_e32 v[8:9], v[44:45], v[40:41]
	v_add_f64 v[4:5], v[72:73], -v[4:5]
	v_mul_f64 v[40:41], v[52:53], v[76:77]
	v_fmac_f64_e32 v[38:39], v[74:75], v[52:53]
	v_fma_f64 v[42:43], v[74:75], v[48:49], -v[40:41]
	v_mul_f64 v[40:41], v[78:79], v[38:39]
	v_mul_f64 v[38:39], v[4:5], v[38:39]
	v_bfe_u32 v19, v19, 16, 8
	s_waitcnt vmcnt(5)
	v_mul_f64 v[52:53], v[92:93], v[118:119]
	v_mul_f64 v[48:49], v[94:95], v[118:119]
	v_fmac_f64_e32 v[52:53], v[94:95], v[116:117]
	v_fma_f64 v[48:49], v[92:93], v[116:117], -v[48:49]
	v_fma_f64 v[40:41], v[4:5], v[42:43], -v[40:41]
	v_fmac_f64_e32 v[38:39], v[78:79], v[42:43]
	v_mul_f64 v[42:43], v[52:53], v[90:91]
	v_lshl_or_b32 v19, v19, 4, v113
	v_fma_f64 v[14:15], v[14:15], 2.0, -v[54:55]
	v_fma_f64 v[54:55], v[88:89], v[48:49], -v[42:43]
	v_mul_f64 v[42:43], v[48:49], v[90:91]
	global_load_dwordx4 v[56:59], v19, s[18:19]
	v_mul_u32_u24_e32 v19, 3, v18
	v_fma_f64 v[28:29], v[28:29], 2.0, -v[44:45]
	v_fmac_f64_e32 v[42:43], v[88:89], v[52:53]
	v_lshlrev_b32_e32 v19, 4, v19
	v_mul_f64 v[44:45], v[28:29], v[42:43]
	v_mul_f64 v[42:43], v[14:15], v[42:43]
	global_load_dwordx4 v[68:71], v19, s[2:3] offset:336
	global_load_dwordx4 v[60:63], v19, s[2:3] offset:320
	v_fmac_f64_e32 v[42:43], v[28:29], v[54:55]
	v_fma_f64 v[44:45], v[14:15], v[54:55], -v[44:45]
	s_waitcnt vmcnt(6)
	v_mul_f64 v[28:29], v[120:121], v[126:127]
	v_mul_f64 v[14:15], v[122:123], v[126:127]
	v_fmac_f64_e32 v[28:29], v[122:123], v[124:125]
	global_load_dwordx4 v[64:67], v19, s[2:3] offset:352
	v_fma_f64 v[14:15], v[120:121], v[124:125], -v[14:15]
	s_waitcnt vmcnt(6)
	v_mul_f64 v[48:49], v[28:29], v[86:87]
	v_add_u32_e32 v19, 48, v18
	v_fma_f64 v[48:49], v[84:85], v[14:15], -v[48:49]
	v_mul_lo_u32 v19, v104, v19
	v_mul_f64 v[14:15], v[14:15], v[86:87]
	v_bfe_u32 v53, v19, 8, 8
	v_fma_f64 v[116:117], v[128:129], 2.0, -v[78:79]
	v_fmac_f64_e32 v[14:15], v[84:85], v[28:29]
	v_fma_f64 v[4:5], v[72:73], 2.0, -v[4:5]
	v_lshlrev_b32_sdwa v52, v114, v19 dst_sel:DWORD dst_unused:UNUSED_PAD src0_sel:DWORD src1_sel:BYTE_0
	v_lshl_or_b32 v53, v53, 4, v112
	v_mul_f64 v[28:29], v[116:117], v[14:15]
	global_load_dwordx4 v[72:75], v52, s[18:19]
	global_load_dwordx4 v[80:83], v53, s[18:19]
	v_fma_f64 v[54:55], v[4:5], v[48:49], -v[28:29]
	v_mul_f64 v[52:53], v[4:5], v[14:15]
	v_add_u32_e32 v4, 24, v18
	v_bfe_u32 v19, v19, 16, 8
	v_mul_lo_u32 v4, v104, v4
	v_lshl_or_b32 v19, v19, 4, v113
	v_lshlrev_b32_sdwa v5, v114, v4 dst_sel:DWORD dst_unused:UNUSED_PAD src0_sel:DWORD src1_sel:BYTE_0
	global_load_dwordx4 v[76:79], v19, s[18:19]
	global_load_dwordx4 v[84:87], v5, s[18:19]
	v_bfe_u32 v5, v4, 8, 8
	v_lshl_or_b32 v5, v5, 4, v112
	global_load_dwordx4 v[92:95], v5, s[18:19]
	v_bfe_u32 v4, v4, 16, 8
	v_lshl_or_b32 v4, v4, 4, v113
	global_load_dwordx4 v[88:91], v4, s[18:19]
	v_mul_lo_u32 v19, v104, v18
	v_lshlrev_b32_sdwa v28, v114, v19 dst_sel:DWORD dst_unused:UNUSED_PAD src0_sel:DWORD src1_sel:BYTE_0
	v_bfe_u32 v29, v19, 8, 8
	v_fmac_f64_e32 v[52:53], v[116:117], v[48:49]
	v_lshl_or_b32 v29, v29, 4, v112
	v_bfe_u32 v19, v19, 16, 8
	s_waitcnt vmcnt(10)
	v_mul_f64 v[4:5], v[98:99], v[102:103]
	v_mul_f64 v[14:15], v[96:97], v[102:103]
	v_fma_f64 v[4:5], v[96:97], v[100:101], -v[4:5]
	v_fmac_f64_e32 v[14:15], v[98:99], v[100:101]
	global_load_dwordx4 v[100:103], v28, s[18:19]
	global_load_dwordx4 v[116:119], v29, s[18:19]
	v_lshl_or_b32 v19, v19, 4, v113
	global_load_dwordx4 v[96:99], v19, s[18:19]
	s_mov_b32 s5, 0xaaab
	v_mul_u32_u24_sdwa v0, v0, s5 dst_sel:DWORD dst_unused:UNUSED_PAD src0_sel:WORD_0 src1_sel:DWORD
	s_movk_i32 s5, 0x60
	v_mul_lo_u16_sdwa v0, v0, s5 dst_sel:DWORD dst_unused:UNUSED_PAD src0_sel:BYTE_3 src1_sel:DWORD
	v_mul_lo_u32 v104, s6, v1
	v_or_b32_e32 v112, v0, v18
	s_mul_i32 s2, s6, s16
	s_mul_i32 s3, s8, s12
	s_add_i32 s3, s3, s2
	s_mul_i32 s2, s10, s14
	s_add_i32 s2, s2, s3
	s_movk_i32 s3, 0x48
	s_waitcnt vmcnt(12)
	v_mul_f64 v[18:19], v[14:15], v[58:59]
	v_fma_f64 v[18:19], v[56:57], v[4:5], -v[18:19]
	v_mul_f64 v[4:5], v[4:5], v[58:59]
	v_fmac_f64_e32 v[4:5], v[56:57], v[14:15]
	s_waitcnt vmcnt(11)
	v_mul_f64 v[0:1], v[12:13], v[70:71]
	v_fma_f64 v[0:1], v[16:17], v[68:69], -v[0:1]
	v_add_f64 v[48:49], v[46:47], -v[0:1]
	v_mul_f64 v[0:1], v[16:17], v[70:71]
	v_fmac_f64_e32 v[0:1], v[12:13], v[68:69]
	s_waitcnt vmcnt(10)
	v_mul_f64 v[16:17], v[108:109], v[62:63]
	v_add_f64 v[70:71], v[2:3], -v[0:1]
	s_waitcnt vmcnt(9)
	v_mul_f64 v[12:13], v[50:51], v[66:67]
	v_fmac_f64_e32 v[12:13], v[6:7], v[64:65]
	v_mul_f64 v[0:1], v[106:107], v[62:63]
	v_mul_f64 v[6:7], v[6:7], v[66:67]
	v_fmac_f64_e32 v[16:17], v[106:107], v[60:61]
	v_fma_f64 v[0:1], v[108:109], v[60:61], -v[0:1]
	v_fma_f64 v[6:7], v[50:51], v[64:65], -v[6:7]
	v_add_f64 v[12:13], v[16:17], -v[12:13]
	v_add_f64 v[28:29], v[0:1], -v[6:7]
	;; [unrolled: 1-line block ×3, first 2 shown]
	v_add_f64 v[50:51], v[70:71], v[28:29]
	v_fma_f64 v[56:57], v[46:47], 2.0, -v[48:49]
	v_fma_f64 v[0:1], v[0:1], 2.0, -v[28:29]
	v_mul_f64 v[6:7], v[50:51], v[4:5]
	s_waitcnt vmcnt(7)
	v_mul_f64 v[14:15], v[72:73], v[82:83]
	v_mul_f64 v[4:5], v[68:69], v[4:5]
	v_add_f64 v[58:59], v[56:57], -v[0:1]
	v_mul_f64 v[0:1], v[74:75], v[82:83]
	v_fmac_f64_e32 v[14:15], v[74:75], v[80:81]
	v_fma_f64 v[6:7], v[68:69], v[18:19], -v[6:7]
	v_fmac_f64_e32 v[4:5], v[50:51], v[18:19]
	v_fma_f64 v[0:1], v[72:73], v[80:81], -v[0:1]
	s_waitcnt vmcnt(6)
	v_mul_f64 v[18:19], v[14:15], v[78:79]
	v_fma_f64 v[46:47], v[76:77], v[0:1], -v[18:19]
	v_mul_f64 v[0:1], v[0:1], v[78:79]
	v_fma_f64 v[18:19], v[2:3], 2.0, -v[70:71]
	v_fma_f64 v[2:3], v[16:17], 2.0, -v[12:13]
	v_fmac_f64_e32 v[0:1], v[76:77], v[14:15]
	s_waitcnt vmcnt(4)
	v_mul_f64 v[14:15], v[86:87], v[94:95]
	v_add_f64 v[28:29], v[18:19], -v[2:3]
	v_fma_f64 v[14:15], v[84:85], v[92:93], -v[14:15]
	v_mul_f64 v[16:17], v[84:85], v[94:95]
	v_mul_f64 v[2:3], v[28:29], v[0:1]
	;; [unrolled: 1-line block ×3, first 2 shown]
	v_fma_f64 v[12:13], v[48:49], 2.0, -v[68:69]
	v_fmac_f64_e32 v[16:17], v[86:87], v[92:93]
	v_fma_f64 v[48:49], v[70:71], 2.0, -v[50:51]
	s_waitcnt vmcnt(3)
	v_mul_f64 v[50:51], v[14:15], v[90:91]
	v_fma_f64 v[2:3], v[58:59], v[46:47], -v[2:3]
	v_fmac_f64_e32 v[0:1], v[28:29], v[46:47]
	v_mul_f64 v[46:47], v[16:17], v[90:91]
	v_fmac_f64_e32 v[50:51], v[88:89], v[16:17]
	v_fma_f64 v[46:47], v[88:89], v[14:15], -v[46:47]
	v_mul_f64 v[14:15], v[48:49], v[50:51]
	v_fma_f64 v[14:15], v[12:13], v[46:47], -v[14:15]
	v_mul_f64 v[12:13], v[12:13], v[50:51]
	s_waitcnt vmcnt(1)
	v_mul_f64 v[50:51], v[102:103], v[118:119]
	v_fmac_f64_e32 v[12:13], v[48:49], v[46:47]
	v_mul_lo_u32 v16, s4, v112
	v_fma_f64 v[48:49], v[56:57], 2.0, -v[58:59]
	v_fma_f64 v[50:51], v[100:101], v[116:117], -v[50:51]
	v_mul_f64 v[56:57], v[100:101], v[118:119]
	v_add3_u32 v16, v104, v16, s2
	v_mov_b32_e32 v17, 0
	v_fmac_f64_e32 v[56:57], v[116:117], v[102:103]
	v_fma_f64 v[18:19], v[18:19], 2.0, -v[28:29]
	s_waitcnt vmcnt(0)
	v_mul_f64 v[28:29], v[98:99], v[50:51]
	v_lshl_add_u64 v[46:47], v[16:17], 4, s[0:1]
	v_mul_f64 v[58:59], v[98:99], v[56:57]
	v_fmac_f64_e32 v[28:29], v[96:97], v[56:57]
	v_add_u32_e32 v16, 24, v112
	v_fma_f64 v[58:59], v[96:97], v[50:51], -v[58:59]
	v_mul_f64 v[50:51], v[18:19], v[28:29]
	v_mul_lo_u32 v16, s4, v16
	v_fma_f64 v[50:51], v[48:49], v[58:59], -v[50:51]
	v_mul_f64 v[48:49], v[48:49], v[28:29]
	v_add3_u32 v16, v104, v16, s2
	v_fmac_f64_e32 v[48:49], v[18:19], v[58:59]
	v_lshl_add_u64 v[18:19], v[16:17], 4, s[0:1]
	global_store_dwordx4 v[46:47], v[48:51], off
	global_store_dwordx4 v[18:19], v[12:15], off
	s_nop 1
	v_add_u32_e32 v12, 48, v112
	v_mul_lo_u32 v12, s4, v12
	v_add3_u32 v16, v104, v12, s2
	v_lshl_add_u64 v[12:13], v[16:17], 4, s[0:1]
	global_store_dwordx4 v[12:13], v[0:3], off
	s_nop 1
	v_add_u32_e32 v0, 0x48, v112
	v_mul_lo_u32 v0, s4, v0
	v_add3_u32 v16, v104, v0, s2
	v_lshl_add_u64 v[0:1], v[16:17], 4, s[0:1]
	v_mad_u32_u24 v2, v115, s3, v105
	global_store_dwordx4 v[0:1], v[4:7], off
	v_mul_lo_u32 v0, s4, v2
	v_add3_u32 v16, v104, v0, s2
	v_lshl_add_u64 v[0:1], v[16:17], 4, s[0:1]
	global_store_dwordx4 v[0:1], v[52:55], off
	v_add_u32_e32 v0, 24, v2
	v_mul_lo_u32 v0, s4, v0
	v_add3_u32 v16, v104, v0, s2
	v_lshl_add_u64 v[0:1], v[16:17], 4, s[0:1]
	global_store_dwordx4 v[0:1], v[42:45], off
	v_add_u32_e32 v0, 48, v2
	v_mul_lo_u32 v0, s4, v0
	v_add3_u32 v16, v104, v0, s2
	v_lshl_add_u64 v[0:1], v[16:17], 4, s[0:1]
	global_store_dwordx4 v[0:1], v[38:41], off
	v_add_u32_e32 v0, 0x48, v2
	v_mul_lo_u32 v0, s4, v0
	v_add3_u32 v16, v104, v0, s2
	v_lshl_add_u64 v[0:1], v[16:17], 4, s[0:1]
	v_mad_u32_u24 v2, v111, s3, v110
	global_store_dwordx4 v[0:1], v[8:11], off
	v_mul_lo_u32 v0, s4, v2
	v_add3_u32 v16, v104, v0, s2
	v_lshl_add_u64 v[0:1], v[16:17], 4, s[0:1]
	global_store_dwordx4 v[0:1], v[34:37], off
	v_add_u32_e32 v0, 24, v2
	v_mul_lo_u32 v0, s4, v0
	v_add3_u32 v16, v104, v0, s2
	v_lshl_add_u64 v[0:1], v[16:17], 4, s[0:1]
	global_store_dwordx4 v[0:1], v[30:33], off
	v_add_u32_e32 v0, 48, v2
	v_mul_lo_u32 v0, s4, v0
	v_add3_u32 v16, v104, v0, s2
	v_lshl_add_u64 v[0:1], v[16:17], 4, s[0:1]
	global_store_dwordx4 v[0:1], v[24:27], off
	v_add_u32_e32 v0, 0x48, v2
	v_mul_lo_u32 v0, s4, v0
	v_add3_u32 v16, v104, v0, s2
	v_lshl_add_u64 v[0:1], v[16:17], 4, s[0:1]
	global_store_dwordx4 v[0:1], v[20:23], off
.LBB0_32:
	s_endpgm
	.section	.rodata,"a",@progbits
	.p2align	6, 0x0
	.amdhsa_kernel fft_rtc_back_len96_factors_4_2_3_4_wgs_128_tpt_8_halfLds_dim3_dp_op_CI_CI_sbcc_twdbase8_3step_dirReg_intrinsicReadWrite
		.amdhsa_group_segment_fixed_size 0
		.amdhsa_private_segment_fixed_size 0
		.amdhsa_kernarg_size 104
		.amdhsa_user_sgpr_count 2
		.amdhsa_user_sgpr_dispatch_ptr 0
		.amdhsa_user_sgpr_queue_ptr 0
		.amdhsa_user_sgpr_kernarg_segment_ptr 1
		.amdhsa_user_sgpr_dispatch_id 0
		.amdhsa_user_sgpr_kernarg_preload_length 0
		.amdhsa_user_sgpr_kernarg_preload_offset 0
		.amdhsa_user_sgpr_private_segment_size 0
		.amdhsa_uses_dynamic_stack 0
		.amdhsa_enable_private_segment 0
		.amdhsa_system_sgpr_workgroup_id_x 1
		.amdhsa_system_sgpr_workgroup_id_y 0
		.amdhsa_system_sgpr_workgroup_id_z 0
		.amdhsa_system_sgpr_workgroup_info 0
		.amdhsa_system_vgpr_workitem_id 0
		.amdhsa_next_free_vgpr 130
		.amdhsa_next_free_sgpr 26
		.amdhsa_accum_offset 132
		.amdhsa_reserve_vcc 1
		.amdhsa_float_round_mode_32 0
		.amdhsa_float_round_mode_16_64 0
		.amdhsa_float_denorm_mode_32 3
		.amdhsa_float_denorm_mode_16_64 3
		.amdhsa_dx10_clamp 1
		.amdhsa_ieee_mode 1
		.amdhsa_fp16_overflow 0
		.amdhsa_tg_split 0
		.amdhsa_exception_fp_ieee_invalid_op 0
		.amdhsa_exception_fp_denorm_src 0
		.amdhsa_exception_fp_ieee_div_zero 0
		.amdhsa_exception_fp_ieee_overflow 0
		.amdhsa_exception_fp_ieee_underflow 0
		.amdhsa_exception_fp_ieee_inexact 0
		.amdhsa_exception_int_div_zero 0
	.end_amdhsa_kernel
	.text
.Lfunc_end0:
	.size	fft_rtc_back_len96_factors_4_2_3_4_wgs_128_tpt_8_halfLds_dim3_dp_op_CI_CI_sbcc_twdbase8_3step_dirReg_intrinsicReadWrite, .Lfunc_end0-fft_rtc_back_len96_factors_4_2_3_4_wgs_128_tpt_8_halfLds_dim3_dp_op_CI_CI_sbcc_twdbase8_3step_dirReg_intrinsicReadWrite
                                        ; -- End function
	.section	.AMDGPU.csdata,"",@progbits
; Kernel info:
; codeLenInByte = 7448
; NumSgprs: 32
; NumVgprs: 130
; NumAgprs: 0
; TotalNumVgprs: 130
; ScratchSize: 0
; MemoryBound: 0
; FloatMode: 240
; IeeeMode: 1
; LDSByteSize: 0 bytes/workgroup (compile time only)
; SGPRBlocks: 3
; VGPRBlocks: 16
; NumSGPRsForWavesPerEU: 32
; NumVGPRsForWavesPerEU: 130
; AccumOffset: 132
; Occupancy: 3
; WaveLimiterHint : 1
; COMPUTE_PGM_RSRC2:SCRATCH_EN: 0
; COMPUTE_PGM_RSRC2:USER_SGPR: 2
; COMPUTE_PGM_RSRC2:TRAP_HANDLER: 0
; COMPUTE_PGM_RSRC2:TGID_X_EN: 1
; COMPUTE_PGM_RSRC2:TGID_Y_EN: 0
; COMPUTE_PGM_RSRC2:TGID_Z_EN: 0
; COMPUTE_PGM_RSRC2:TIDIG_COMP_CNT: 0
; COMPUTE_PGM_RSRC3_GFX90A:ACCUM_OFFSET: 32
; COMPUTE_PGM_RSRC3_GFX90A:TG_SPLIT: 0
	.text
	.p2alignl 6, 3212836864
	.fill 256, 4, 3212836864
	.type	__hip_cuid_d5bf27f7d95a8b54,@object ; @__hip_cuid_d5bf27f7d95a8b54
	.section	.bss,"aw",@nobits
	.globl	__hip_cuid_d5bf27f7d95a8b54
__hip_cuid_d5bf27f7d95a8b54:
	.byte	0                               ; 0x0
	.size	__hip_cuid_d5bf27f7d95a8b54, 1

	.ident	"AMD clang version 19.0.0git (https://github.com/RadeonOpenCompute/llvm-project roc-6.4.0 25133 c7fe45cf4b819c5991fe208aaa96edf142730f1d)"
	.section	".note.GNU-stack","",@progbits
	.addrsig
	.addrsig_sym __hip_cuid_d5bf27f7d95a8b54
	.amdgpu_metadata
---
amdhsa.kernels:
  - .agpr_count:     0
    .args:
      - .actual_access:  read_only
        .address_space:  global
        .offset:         0
        .size:           8
        .value_kind:     global_buffer
      - .address_space:  global
        .offset:         8
        .size:           8
        .value_kind:     global_buffer
      - .actual_access:  read_only
        .address_space:  global
        .offset:         16
        .size:           8
        .value_kind:     global_buffer
      - .actual_access:  read_only
        .address_space:  global
        .offset:         24
        .size:           8
        .value_kind:     global_buffer
      - .actual_access:  read_only
        .address_space:  global
        .offset:         32
        .size:           8
        .value_kind:     global_buffer
      - .offset:         40
        .size:           8
        .value_kind:     by_value
      - .actual_access:  read_only
        .address_space:  global
        .offset:         48
        .size:           8
        .value_kind:     global_buffer
      - .actual_access:  read_only
        .address_space:  global
        .offset:         56
        .size:           8
        .value_kind:     global_buffer
      - .offset:         64
        .size:           4
        .value_kind:     by_value
      - .actual_access:  read_only
        .address_space:  global
        .offset:         72
        .size:           8
        .value_kind:     global_buffer
      - .actual_access:  read_only
        .address_space:  global
        .offset:         80
        .size:           8
        .value_kind:     global_buffer
      - .actual_access:  read_only
        .address_space:  global
        .offset:         88
        .size:           8
        .value_kind:     global_buffer
      - .actual_access:  write_only
        .address_space:  global
        .offset:         96
        .size:           8
        .value_kind:     global_buffer
    .group_segment_fixed_size: 0
    .kernarg_segment_align: 8
    .kernarg_segment_size: 104
    .language:       OpenCL C
    .language_version:
      - 2
      - 0
    .max_flat_workgroup_size: 128
    .name:           fft_rtc_back_len96_factors_4_2_3_4_wgs_128_tpt_8_halfLds_dim3_dp_op_CI_CI_sbcc_twdbase8_3step_dirReg_intrinsicReadWrite
    .private_segment_fixed_size: 0
    .sgpr_count:     32
    .sgpr_spill_count: 0
    .symbol:         fft_rtc_back_len96_factors_4_2_3_4_wgs_128_tpt_8_halfLds_dim3_dp_op_CI_CI_sbcc_twdbase8_3step_dirReg_intrinsicReadWrite.kd
    .uniform_work_group_size: 1
    .uses_dynamic_stack: false
    .vgpr_count:     130
    .vgpr_spill_count: 0
    .wavefront_size: 64
amdhsa.target:   amdgcn-amd-amdhsa--gfx950
amdhsa.version:
  - 1
  - 2
...

	.end_amdgpu_metadata
